;; amdgpu-corpus repo=ROCm/rocFFT kind=compiled arch=gfx906 opt=O3
	.text
	.amdgcn_target "amdgcn-amd-amdhsa--gfx906"
	.amdhsa_code_object_version 6
	.protected	bluestein_single_fwd_len1715_dim1_dp_op_CI_CI ; -- Begin function bluestein_single_fwd_len1715_dim1_dp_op_CI_CI
	.globl	bluestein_single_fwd_len1715_dim1_dp_op_CI_CI
	.p2align	8
	.type	bluestein_single_fwd_len1715_dim1_dp_op_CI_CI,@function
bluestein_single_fwd_len1715_dim1_dp_op_CI_CI: ; @bluestein_single_fwd_len1715_dim1_dp_op_CI_CI
; %bb.0:
	s_load_dwordx4 s[8:11], s[4:5], 0x28
	v_mul_u32_u24_e32 v1, 0x10c, v0
	v_add_u32_sdwa v134, s6, v1 dst_sel:DWORD dst_unused:UNUSED_PAD src0_sel:DWORD src1_sel:WORD_1
	v_mov_b32_e32 v135, 0
	s_waitcnt lgkmcnt(0)
	v_cmp_gt_u64_e32 vcc, s[8:9], v[134:135]
	s_and_saveexec_b64 s[0:1], vcc
	s_cbranch_execz .LBB0_15
; %bb.1:
	s_load_dwordx4 s[0:3], s[4:5], 0x18
	s_load_dwordx2 s[6:7], s[4:5], 0x38
	s_waitcnt lgkmcnt(0)
	s_load_dwordx4 s[12:15], s[0:1], 0x0
	s_movk_i32 s0, 0xf5
	v_mul_lo_u16_sdwa v1, v1, s0 dst_sel:DWORD dst_unused:UNUSED_PAD src0_sel:WORD_1 src1_sel:DWORD
	v_sub_u16_e32 v136, v0, v1
	v_lshlrev_b32_e32 v135, 4, v136
	s_waitcnt lgkmcnt(0)
	v_mad_u64_u32 v[0:1], s[0:1], s14, v134, 0
	v_mad_u64_u32 v[2:3], s[0:1], s12, v136, 0
	;; [unrolled: 1-line block ×3, first 2 shown]
	s_load_dwordx2 s[14:15], s[4:5], 0x0
	v_mad_u64_u32 v[5:6], s[0:1], s13, v136, v[3:4]
	v_mov_b32_e32 v1, v4
	v_lshlrev_b64 v[0:1], 4, v[0:1]
	v_mov_b32_e32 v6, s11
	v_mov_b32_e32 v3, v5
	v_add_co_u32_e32 v4, vcc, s10, v0
	v_addc_co_u32_e32 v5, vcc, v6, v1, vcc
	v_lshlrev_b64 v[0:1], 4, v[2:3]
	s_waitcnt lgkmcnt(0)
	v_mov_b32_e32 v2, s15
	v_add_co_u32_e32 v0, vcc, v4, v0
	v_addc_co_u32_e32 v1, vcc, v5, v1, vcc
	v_add_co_u32_e32 v132, vcc, s14, v135
	v_addc_co_u32_e64 v133, s[0:1], 0, v2, vcc
	s_mul_i32 s0, s13, 0x157
	s_mul_hi_u32 s1, s12, 0x157
	s_add_i32 s1, s1, s0
	s_mul_i32 s0, s12, 0x157
	s_lshl_b64 s[16:17], s[0:1], 4
	v_mov_b32_e32 v10, s17
	v_add_co_u32_e64 v2, s[0:1], s16, v0
	v_addc_co_u32_e64 v3, s[0:1], v1, v10, s[0:1]
	s_movk_i32 s0, 0x1000
	global_load_dwordx4 v[4:7], v135, s[14:15]
	global_load_dwordx4 v[26:29], v[0:1], off
	global_load_dwordx4 v[30:33], v[2:3], off
	v_add_co_u32_e64 v0, s[0:1], s0, v132
	v_addc_co_u32_e64 v1, s[0:1], 0, v133, s[0:1]
	v_add_co_u32_e64 v8, s[0:1], s16, v2
	v_addc_co_u32_e64 v9, s[0:1], v3, v10, s[0:1]
	s_movk_i32 s0, 0x2000
	v_add_co_u32_e64 v22, s[0:1], s0, v132
	v_addc_co_u32_e64 v23, s[0:1], 0, v133, s[0:1]
	global_load_dwordx4 v[34:37], v[8:9], off
	v_add_co_u32_e64 v8, s[0:1], s16, v8
	v_addc_co_u32_e64 v9, s[0:1], v9, v10, s[0:1]
	s_movk_i32 s0, 0x4000
	v_add_co_u32_e64 v20, s[0:1], s0, v132
	v_addc_co_u32_e64 v21, s[0:1], 0, v133, s[0:1]
	v_add_co_u32_e64 v24, s[0:1], s16, v8
	global_load_dwordx4 v[16:19], v[0:1], off offset:1392
	v_addc_co_u32_e64 v25, s[0:1], v9, v10, s[0:1]
	global_load_dwordx4 v[0:3], v[22:23], off offset:2784
	s_movk_i32 s0, 0x5000
	global_load_dwordx4 v[38:41], v[8:9], off
	v_add_co_u32_e64 v46, s[0:1], s0, v132
	v_addc_co_u32_e64 v47, s[0:1], 0, v133, s[0:1]
	global_load_dwordx4 v[8:11], v[20:21], off offset:80
	global_load_dwordx4 v[12:15], v[46:47], off offset:1472
	global_load_dwordx4 v[42:45], v[24:25], off
	s_load_dwordx4 s[8:11], s[2:3], 0x0
	s_movk_i32 s0, 0x62
	v_cmp_gt_u16_e64 s[0:1], s0, v136
	s_waitcnt vmcnt(8)
	v_mul_f64 v[46:47], v[28:29], v[6:7]
	v_mul_f64 v[48:49], v[26:27], v[6:7]
	v_fma_f64 v[26:27], v[26:27], v[4:5], v[46:47]
	v_fma_f64 v[28:29], v[28:29], v[4:5], -v[48:49]
	s_waitcnt vmcnt(5)
	v_mul_f64 v[50:51], v[32:33], v[18:19]
	v_mul_f64 v[52:53], v[30:31], v[18:19]
	s_waitcnt vmcnt(4)
	v_mul_f64 v[54:55], v[36:37], v[2:3]
	v_mul_f64 v[56:57], v[34:35], v[2:3]
	;; [unrolled: 3-line block ×4, first 2 shown]
	v_fma_f64 v[30:31], v[30:31], v[16:17], v[50:51]
	v_fma_f64 v[32:33], v[32:33], v[16:17], -v[52:53]
	v_fma_f64 v[34:35], v[34:35], v[0:1], v[54:55]
	v_fma_f64 v[36:37], v[36:37], v[0:1], -v[56:57]
	;; [unrolled: 2-line block ×4, first 2 shown]
	ds_write_b128 v135, v[26:29]
	ds_write_b128 v135, v[30:33] offset:5488
	ds_write_b128 v135, v[34:37] offset:10976
	;; [unrolled: 1-line block ×4, first 2 shown]
	s_and_saveexec_b64 s[18:19], s[0:1]
	s_cbranch_execz .LBB0_3
; %bb.2:
	v_mov_b32_e32 v26, 0xffffb990
	v_mad_u64_u32 v[28:29], s[2:3], s12, v26, v[24:25]
	s_mul_i32 s2, s13, 0xffffb990
	s_sub_i32 s2, s2, s12
	v_add_u32_e32 v29, s2, v29
	v_mov_b32_e32 v56, s17
	v_add_co_u32_e64 v40, s[2:3], s16, v28
	v_addc_co_u32_e64 v41, s[2:3], v29, v56, s[2:3]
	global_load_dwordx4 v[24:27], v[28:29], off
	s_nop 0
	global_load_dwordx4 v[28:31], v[40:41], off
	global_load_dwordx4 v[32:35], v[132:133], off offset:3920
	global_load_dwordx4 v[36:39], v[22:23], off offset:1216
	v_add_co_u32_e64 v22, s[2:3], s16, v40
	v_addc_co_u32_e64 v23, s[2:3], v41, v56, s[2:3]
	s_movk_i32 s2, 0x3000
	v_add_co_u32_e64 v44, s[2:3], s2, v132
	v_addc_co_u32_e64 v45, s[2:3], 0, v133, s[2:3]
	global_load_dwordx4 v[40:43], v[22:23], off
	v_add_co_u32_e64 v22, s[2:3], s16, v22
	v_addc_co_u32_e64 v23, s[2:3], v23, v56, s[2:3]
	v_add_co_u32_e64 v60, s[2:3], s16, v22
	v_addc_co_u32_e64 v61, s[2:3], v23, v56, s[2:3]
	s_movk_i32 s2, 0x6000
	global_load_dwordx4 v[44:47], v[44:45], off offset:2608
	v_add_co_u32_e64 v62, s[2:3], s2, v132
	global_load_dwordx4 v[48:51], v[22:23], off
	global_load_dwordx4 v[52:55], v[20:21], off offset:4000
	v_addc_co_u32_e64 v63, s[2:3], 0, v133, s[2:3]
	global_load_dwordx4 v[20:23], v[62:63], off offset:1296
	global_load_dwordx4 v[56:59], v[60:61], off
	s_waitcnt vmcnt(7)
	v_mul_f64 v[60:61], v[26:27], v[34:35]
	v_mul_f64 v[34:35], v[24:25], v[34:35]
	s_waitcnt vmcnt(6)
	v_mul_f64 v[62:63], v[30:31], v[38:39]
	v_mul_f64 v[38:39], v[28:29], v[38:39]
	;; [unrolled: 3-line block ×5, first 2 shown]
	v_fma_f64 v[22:23], v[24:25], v[32:33], v[60:61]
	v_fma_f64 v[24:25], v[26:27], v[32:33], -v[34:35]
	v_fma_f64 v[26:27], v[28:29], v[36:37], v[62:63]
	v_fma_f64 v[28:29], v[30:31], v[36:37], -v[38:39]
	;; [unrolled: 2-line block ×5, first 2 shown]
	ds_write_b128 v135, v[22:25] offset:3920
	ds_write_b128 v135, v[26:29] offset:9408
	;; [unrolled: 1-line block ×5, first 2 shown]
.LBB0_3:
	s_or_b64 exec, exec, s[18:19]
	s_waitcnt lgkmcnt(0)
	s_barrier
	ds_read_b128 v[56:59], v135
	ds_read_b128 v[20:23], v135 offset:5488
	ds_read_b128 v[24:27], v135 offset:10976
	;; [unrolled: 1-line block ×4, first 2 shown]
	s_load_dwordx2 s[30:31], s[4:5], 0x8
                                        ; implicit-def: $vgpr32_vgpr33
                                        ; implicit-def: $vgpr36_vgpr37
                                        ; implicit-def: $vgpr40_vgpr41
                                        ; implicit-def: $vgpr44_vgpr45
                                        ; implicit-def: $vgpr48_vgpr49
	s_and_saveexec_b64 s[2:3], s[0:1]
	s_cbranch_execz .LBB0_5
; %bb.4:
	ds_read_b128 v[32:35], v135 offset:3920
	ds_read_b128 v[36:39], v135 offset:9408
	ds_read_b128 v[40:43], v135 offset:14896
	ds_read_b128 v[44:47], v135 offset:20384
	ds_read_b128 v[48:51], v135 offset:25872
.LBB0_5:
	s_or_b64 exec, exec, s[2:3]
	s_waitcnt lgkmcnt(0)
	v_add_f64 v[60:61], v[24:25], v[28:29]
	v_add_f64 v[62:63], v[56:57], v[20:21]
	v_add_f64 v[64:65], v[22:23], -v[54:55]
	v_add_f64 v[74:75], v[20:21], v[52:53]
	s_mov_b32 s4, 0x134454ff
	s_mov_b32 s5, 0x3fee6f0e
	;; [unrolled: 1-line block ×4, first 2 shown]
	v_fma_f64 v[60:61], v[60:61], -0.5, v[56:57]
	v_add_f64 v[62:63], v[62:63], v[24:25]
	v_add_f64 v[66:67], v[26:27], -v[30:31]
	v_add_f64 v[68:69], v[20:21], -v[24:25]
	;; [unrolled: 1-line block ×3, first 2 shown]
	v_add_f64 v[76:77], v[58:59], v[22:23]
	v_add_f64 v[78:79], v[26:27], v[30:31]
	v_fma_f64 v[56:57], v[74:75], -0.5, v[56:57]
	v_fma_f64 v[72:73], v[64:65], s[4:5], v[60:61]
	v_add_f64 v[62:63], v[62:63], v[28:29]
	v_fma_f64 v[60:61], v[64:65], s[18:19], v[60:61]
	s_mov_b32 s12, 0x4755a5e
	s_mov_b32 s13, 0x3fe2cf23
	;; [unrolled: 1-line block ×4, first 2 shown]
	v_add_f64 v[82:83], v[20:21], -v[52:53]
	v_add_f64 v[70:71], v[68:69], v[70:71]
	v_fma_f64 v[72:73], v[66:67], s[12:13], v[72:73]
	v_fma_f64 v[74:75], v[78:79], -0.5, v[58:59]
	v_add_f64 v[68:69], v[62:63], v[52:53]
	v_fma_f64 v[60:61], v[66:67], s[20:21], v[60:61]
	v_fma_f64 v[62:63], v[66:67], s[18:19], v[56:57]
	v_add_f64 v[20:21], v[24:25], -v[20:21]
	v_add_f64 v[52:53], v[28:29], -v[52:53]
	v_fma_f64 v[56:57], v[66:67], s[4:5], v[56:57]
	v_add_f64 v[66:67], v[76:77], v[26:27]
	v_fma_f64 v[76:77], v[82:83], s[18:19], v[74:75]
	v_add_f64 v[24:25], v[24:25], -v[28:29]
	v_add_f64 v[28:29], v[22:23], -v[26:27]
	;; [unrolled: 1-line block ×3, first 2 shown]
	v_fma_f64 v[74:75], v[82:83], s[4:5], v[74:75]
	v_add_f64 v[80:81], v[22:23], v[54:55]
	v_add_f64 v[20:21], v[20:21], v[52:53]
	v_fma_f64 v[52:53], v[64:65], s[20:21], v[56:57]
	v_add_f64 v[56:57], v[66:67], v[30:31]
	v_add_f64 v[86:87], v[40:41], v[44:45]
	s_mov_b32 s16, 0x372fe950
	s_mov_b32 s17, 0x3fd3c6ef
	v_fma_f64 v[72:73], v[70:71], s[16:17], v[72:73]
	v_fma_f64 v[62:63], v[64:65], s[12:13], v[62:63]
	;; [unrolled: 1-line block ×3, first 2 shown]
	v_add_f64 v[28:29], v[28:29], v[78:79]
	v_fma_f64 v[66:67], v[24:25], s[12:13], v[74:75]
	v_fma_f64 v[58:59], v[80:81], -0.5, v[58:59]
	v_fma_f64 v[76:77], v[70:71], s[16:17], v[60:61]
	v_fma_f64 v[84:85], v[20:21], s[16:17], v[52:53]
	v_add_f64 v[70:71], v[56:57], v[54:55]
	v_fma_f64 v[52:53], v[86:87], -0.5, v[32:33]
	v_add_f64 v[56:57], v[38:39], -v[50:51]
	v_add_f64 v[22:23], v[26:27], -v[22:23]
	;; [unrolled: 1-line block ×3, first 2 shown]
	v_fma_f64 v[80:81], v[20:21], s[16:17], v[62:63]
	v_fma_f64 v[74:75], v[28:29], s[16:17], v[64:65]
	;; [unrolled: 1-line block ×5, first 2 shown]
	v_add_f64 v[54:55], v[42:43], -v[46:47]
	v_add_f64 v[28:29], v[36:37], v[48:49]
	v_add_f64 v[30:31], v[36:37], -v[40:41]
	v_add_f64 v[58:59], v[48:49], -v[44:45]
	v_fma_f64 v[60:61], v[56:57], s[18:19], v[52:53]
	v_add_f64 v[62:63], v[42:43], v[46:47]
	v_add_f64 v[22:23], v[22:23], v[26:27]
	;; [unrolled: 1-line block ×3, first 2 shown]
	v_add_f64 v[66:67], v[36:37], -v[48:49]
	v_fma_f64 v[28:29], v[28:29], -0.5, v[32:33]
	v_fma_f64 v[20:21], v[82:83], s[20:21], v[20:21]
	v_add_f64 v[58:59], v[30:31], v[58:59]
	v_fma_f64 v[30:31], v[54:55], s[20:21], v[60:61]
	v_fma_f64 v[60:61], v[62:63], -0.5, v[34:35]
	v_add_f64 v[62:63], v[40:41], -v[44:45]
	v_fma_f64 v[26:27], v[26:27], -0.5, v[34:35]
	v_fma_f64 v[24:25], v[82:83], s[12:13], v[24:25]
	v_fma_f64 v[64:65], v[54:55], s[18:19], v[28:29]
	v_add_f64 v[82:83], v[40:41], -v[36:37]
	v_add_f64 v[86:87], v[44:45], -v[48:49]
	v_fma_f64 v[28:29], v[54:55], s[4:5], v[28:29]
	v_add_f64 v[88:89], v[38:39], -v[42:43]
	v_add_f64 v[90:91], v[50:51], -v[46:47]
	v_fma_f64 v[92:93], v[66:67], s[4:5], v[60:61]
	v_fma_f64 v[94:95], v[62:63], s[4:5], v[26:27]
	v_add_f64 v[96:97], v[42:43], -v[38:39]
	v_add_f64 v[98:99], v[46:47], -v[50:51]
	v_fma_f64 v[26:27], v[62:63], s[18:19], v[26:27]
	v_fma_f64 v[100:101], v[56:57], s[12:13], v[64:65]
	v_add_f64 v[102:103], v[82:83], v[86:87]
	v_fma_f64 v[104:105], v[56:57], s[20:21], v[28:29]
	v_add_f64 v[64:65], v[88:89], v[90:91]
	v_fma_f64 v[88:89], v[62:63], s[12:13], v[92:93]
	v_fma_f64 v[90:91], v[66:67], s[20:21], v[94:95]
	v_add_f64 v[92:93], v[96:97], v[98:99]
	v_fma_f64 v[26:27], v[66:67], s[12:13], v[26:27]
	v_fma_f64 v[82:83], v[22:23], s[16:17], v[20:21]
	;; [unrolled: 1-line block ×9, first 2 shown]
	s_movk_i32 s2, 0xf5
	v_add_co_u32_e64 v106, s[2:3], s2, v136
	v_mul_lo_u16_e32 v88, 5, v136
	v_lshlrev_b32_e32 v138, 4, v88
	v_mul_u32_u24_e32 v137, 5, v106
	s_barrier
	ds_write_b128 v138, v[68:71]
	ds_write_b128 v138, v[72:75] offset:16
	ds_write_b128 v138, v[80:83] offset:32
	;; [unrolled: 1-line block ×4, first 2 shown]
	s_and_saveexec_b64 s[2:3], s[0:1]
	s_cbranch_execz .LBB0_7
; %bb.6:
	v_add_f64 v[34:35], v[34:35], v[38:39]
	v_add_f64 v[32:33], v[32:33], v[36:37]
	v_mul_f64 v[66:67], v[66:67], s[4:5]
	v_mul_f64 v[36:37], v[56:57], s[4:5]
	;; [unrolled: 1-line block ×4, first 2 shown]
	v_add_f64 v[34:35], v[34:35], v[42:43]
	v_add_f64 v[32:33], v[32:33], v[40:41]
	v_add_f64 v[56:57], v[60:61], -v[66:67]
	v_add_f64 v[36:37], v[52:53], v[36:37]
	v_mul_f64 v[40:41], v[58:59], s[16:17]
	v_mul_f64 v[42:43], v[64:65], s[16:17]
	v_add_f64 v[46:47], v[34:35], v[46:47]
	v_add_f64 v[32:33], v[32:33], v[44:45]
	v_add_f64 v[52:53], v[56:57], -v[54:55]
	v_add_f64 v[44:45], v[38:39], v[36:37]
	v_add_f64 v[38:39], v[46:47], v[50:51]
	;; [unrolled: 1-line block ×5, first 2 shown]
	v_lshlrev_b32_e32 v40, 4, v137
	ds_write_b128 v40, v[20:23] offset:32
	ds_write_b128 v40, v[24:27] offset:48
	ds_write_b128 v40, v[36:39]
	ds_write_b128 v40, v[32:35] offset:16
	ds_write_b128 v40, v[28:31] offset:64
.LBB0_7:
	s_or_b64 exec, exec, s[2:3]
	s_movk_i32 s2, 0xcd
	v_mul_lo_u16_sdwa v32, v136, s2 dst_sel:DWORD dst_unused:UNUSED_PAD src0_sel:BYTE_0 src1_sel:DWORD
	v_lshrrev_b16_e32 v84, 10, v32
	v_mul_lo_u16_e32 v32, 5, v84
	v_sub_u16_e32 v32, v136, v32
	v_and_b32_e32 v85, 0xff, v32
	v_mul_u32_u24_e32 v32, 6, v85
	v_lshlrev_b32_e32 v56, 4, v32
	s_waitcnt lgkmcnt(0)
	s_barrier
	global_load_dwordx4 v[44:47], v56, s[30:31]
	global_load_dwordx4 v[40:43], v56, s[30:31] offset:16
	global_load_dwordx4 v[36:39], v56, s[30:31] offset:32
	;; [unrolled: 1-line block ×5, first 2 shown]
	ds_read_b128 v[56:59], v135
	ds_read_b128 v[60:63], v135 offset:3920
	ds_read_b128 v[64:67], v135 offset:7840
	;; [unrolled: 1-line block ×6, first 2 shown]
	v_mul_u32_u24_e32 v84, 35, v84
	v_add_lshl_u32 v139, v84, v85, 4
	s_mov_b32 s4, 0x37e14327
	s_mov_b32 s2, 0x36b3c0b5
	s_mov_b32 s18, 0xe976ee23
	s_mov_b32 s5, 0x3fe948f6
	s_mov_b32 s3, 0x3fac98ee
	s_mov_b32 s19, 0xbfe11646
	s_mov_b32 s12, 0x429ad128
	s_mov_b32 s13, 0x3febfeb5
	s_mov_b32 s16, 0xaaaaaaaa
	s_mov_b32 s20, 0x5476071b
	s_mov_b32 s24, 0xb247c609
	s_mov_b32 s17, 0xbff2aaaa
	s_mov_b32 s21, 0x3fe77f67
	s_mov_b32 s23, 0xbfe77f67
	s_mov_b32 s25, 0x3fd5d0dc
	s_mov_b32 s22, s20
	s_mov_b32 s27, 0xbfd5d0dc
	s_mov_b32 s26, s24
	s_mov_b32 s28, 0x37c3f68c
	s_mov_b32 s29, 0x3fdc38aa
	s_movk_i32 s14, 0xeb
	s_waitcnt vmcnt(0) lgkmcnt(0)
	s_barrier
	s_mov_b32 s33, 0xc000
	v_mul_f64 v[84:85], v[62:63], v[46:47]
	v_mul_f64 v[86:87], v[60:61], v[46:47]
	;; [unrolled: 1-line block ×12, first 2 shown]
	v_fma_f64 v[60:61], v[60:61], v[44:45], -v[84:85]
	v_fma_f64 v[62:63], v[62:63], v[44:45], v[86:87]
	v_fma_f64 v[64:65], v[64:65], v[40:41], -v[88:89]
	v_fma_f64 v[66:67], v[66:67], v[40:41], v[90:91]
	;; [unrolled: 2-line block ×6, first 2 shown]
	v_add_f64 v[84:85], v[60:61], v[80:81]
	v_add_f64 v[86:87], v[62:63], v[82:83]
	v_add_f64 v[60:61], v[60:61], -v[80:81]
	v_add_f64 v[62:63], v[62:63], -v[82:83]
	v_add_f64 v[80:81], v[64:65], v[76:77]
	v_add_f64 v[82:83], v[66:67], v[78:79]
	v_add_f64 v[64:65], v[64:65], -v[76:77]
	v_add_f64 v[66:67], v[66:67], -v[78:79]
	v_add_f64 v[76:77], v[68:69], v[72:73]
	v_add_f64 v[78:79], v[70:71], v[74:75]
	v_add_f64 v[68:69], v[72:73], -v[68:69]
	v_add_f64 v[70:71], v[74:75], -v[70:71]
	v_add_f64 v[72:73], v[80:81], v[84:85]
	v_add_f64 v[74:75], v[82:83], v[86:87]
	v_add_f64 v[88:89], v[80:81], -v[84:85]
	v_add_f64 v[90:91], v[82:83], -v[86:87]
	v_add_f64 v[84:85], v[84:85], -v[76:77]
	v_add_f64 v[86:87], v[86:87], -v[78:79]
	;; [unrolled: 1-line block ×4, first 2 shown]
	v_add_f64 v[92:93], v[68:69], v[64:65]
	v_add_f64 v[94:95], v[70:71], v[66:67]
	v_add_f64 v[96:97], v[68:69], -v[64:65]
	v_add_f64 v[98:99], v[70:71], -v[66:67]
	v_add_f64 v[72:73], v[76:77], v[72:73]
	v_add_f64 v[74:75], v[78:79], v[74:75]
	v_add_f64 v[64:65], v[64:65], -v[60:61]
	v_add_f64 v[66:67], v[66:67], -v[62:63]
	;; [unrolled: 1-line block ×4, first 2 shown]
	v_add_f64 v[60:61], v[92:93], v[60:61]
	v_add_f64 v[62:63], v[94:95], v[62:63]
	v_mul_f64 v[76:77], v[84:85], s[4:5]
	v_mul_f64 v[78:79], v[86:87], s[4:5]
	;; [unrolled: 1-line block ×6, first 2 shown]
	v_add_f64 v[56:57], v[56:57], v[72:73]
	v_add_f64 v[58:59], v[58:59], v[74:75]
	v_mul_f64 v[96:97], v[64:65], s[12:13]
	v_mul_f64 v[98:99], v[66:67], s[12:13]
	v_fma_f64 v[80:81], v[80:81], s[2:3], v[76:77]
	v_fma_f64 v[82:83], v[82:83], s[2:3], v[78:79]
	v_fma_f64 v[84:85], v[88:89], s[20:21], -v[84:85]
	v_fma_f64 v[86:87], v[90:91], s[20:21], -v[86:87]
	;; [unrolled: 1-line block ×4, first 2 shown]
	v_fma_f64 v[88:89], v[68:69], s[24:25], v[92:93]
	v_fma_f64 v[90:91], v[70:71], s[24:25], v[94:95]
	v_fma_f64 v[72:73], v[72:73], s[16:17], v[56:57]
	v_fma_f64 v[74:75], v[74:75], s[16:17], v[58:59]
	v_fma_f64 v[68:69], v[68:69], s[26:27], -v[96:97]
	v_fma_f64 v[70:71], v[70:71], s[26:27], -v[98:99]
	v_fma_f64 v[64:65], v[64:65], s[12:13], -v[92:93]
	v_fma_f64 v[66:67], v[66:67], s[12:13], -v[94:95]
	v_fma_f64 v[88:89], v[60:61], s[28:29], v[88:89]
	v_fma_f64 v[90:91], v[62:63], s[28:29], v[90:91]
	v_add_f64 v[80:81], v[80:81], v[72:73]
	v_add_f64 v[82:83], v[82:83], v[74:75]
	v_fma_f64 v[96:97], v[60:61], s[28:29], v[68:69]
	v_fma_f64 v[98:99], v[62:63], s[28:29], v[70:71]
	v_add_f64 v[76:77], v[76:77], v[72:73]
	v_add_f64 v[78:79], v[78:79], v[74:75]
	v_fma_f64 v[92:93], v[60:61], s[28:29], v[64:65]
	v_fma_f64 v[94:95], v[62:63], s[28:29], v[66:67]
	v_add_f64 v[72:73], v[84:85], v[72:73]
	v_add_f64 v[74:75], v[86:87], v[74:75]
	v_add_f64 v[60:61], v[90:91], v[80:81]
	v_add_f64 v[62:63], v[82:83], -v[88:89]
	v_add_f64 v[64:65], v[98:99], v[76:77]
	v_add_f64 v[66:67], v[78:79], -v[96:97]
	v_add_f64 v[76:77], v[76:77], -v[98:99]
	v_add_f64 v[78:79], v[96:97], v[78:79]
	v_add_f64 v[68:69], v[72:73], -v[94:95]
	v_add_f64 v[70:71], v[92:93], v[74:75]
	v_add_f64 v[72:73], v[94:95], v[72:73]
	v_add_f64 v[74:75], v[74:75], -v[92:93]
	v_add_f64 v[80:81], v[80:81], -v[90:91]
	v_add_f64 v[82:83], v[88:89], v[82:83]
	ds_write_b128 v139, v[56:59]
	ds_write_b128 v139, v[60:63] offset:80
	ds_write_b128 v139, v[64:67] offset:160
	;; [unrolled: 1-line block ×6, first 2 shown]
	v_mul_lo_u16_sdwa v56, v136, s14 dst_sel:DWORD dst_unused:UNUSED_PAD src0_sel:BYTE_0 src1_sel:DWORD
	v_lshrrev_b16_e32 v84, 13, v56
	v_mul_lo_u16_e32 v56, 35, v84
	v_sub_u16_e32 v56, v136, v56
	v_mov_b32_e32 v81, s31
	v_and_b32_e32 v85, 0xff, v56
	s_movk_i32 s14, 0x60
	v_mov_b32_e32 v80, s30
	v_mad_u64_u32 v[82:83], s[30:31], v85, s14, v[80:81]
	s_waitcnt lgkmcnt(0)
	s_barrier
	global_load_dwordx4 v[68:71], v[82:83], off offset:480
	global_load_dwordx4 v[64:67], v[82:83], off offset:496
	;; [unrolled: 1-line block ×6, first 2 shown]
	v_mad_u64_u32 v[108:109], s[30:31], v136, s14, v[80:81]
	v_mul_u32_u24_e32 v80, 0xf5, v84
	v_add_lshl_u32 v140, v80, v85, 4
	ds_read_b128 v[80:83], v135
	ds_read_b128 v[84:87], v135 offset:3920
	ds_read_b128 v[88:91], v135 offset:7840
	;; [unrolled: 1-line block ×6, first 2 shown]
	s_waitcnt vmcnt(0) lgkmcnt(0)
	s_barrier
	s_movk_i32 s14, 0x6000
	s_mov_b32 s30, 0x9000
	s_mov_b32 s31, 0xa000
	v_mul_f64 v[110:111], v[86:87], v[70:71]
	v_mul_f64 v[112:113], v[84:85], v[70:71]
	v_mul_f64 v[114:115], v[90:91], v[66:67]
	v_mul_f64 v[116:117], v[88:89], v[66:67]
	v_mul_f64 v[126:127], v[106:107], v[74:75]
	v_mul_f64 v[128:129], v[104:105], v[74:75]
	v_mul_f64 v[130:131], v[102:103], v[78:79]
	v_mul_f64 v[141:142], v[100:101], v[78:79]
	v_mul_f64 v[118:119], v[94:95], v[62:63]
	v_mul_f64 v[120:121], v[92:93], v[62:63]
	v_mul_f64 v[122:123], v[98:99], v[58:59]
	v_mul_f64 v[124:125], v[96:97], v[58:59]
	v_fma_f64 v[84:85], v[84:85], v[68:69], -v[110:111]
	v_fma_f64 v[86:87], v[86:87], v[68:69], v[112:113]
	v_fma_f64 v[88:89], v[88:89], v[64:65], -v[114:115]
	v_fma_f64 v[90:91], v[90:91], v[64:65], v[116:117]
	;; [unrolled: 2-line block ×6, first 2 shown]
	v_add_f64 v[110:111], v[84:85], v[104:105]
	v_add_f64 v[112:113], v[86:87], v[106:107]
	v_add_f64 v[84:85], v[84:85], -v[104:105]
	v_add_f64 v[86:87], v[86:87], -v[106:107]
	v_add_f64 v[104:105], v[88:89], v[100:101]
	v_add_f64 v[106:107], v[90:91], v[102:103]
	v_add_f64 v[88:89], v[88:89], -v[100:101]
	v_add_f64 v[90:91], v[90:91], -v[102:103]
	;; [unrolled: 4-line block ×4, first 2 shown]
	v_add_f64 v[110:111], v[110:111], -v[100:101]
	v_add_f64 v[112:113], v[112:113], -v[102:103]
	;; [unrolled: 1-line block ×4, first 2 shown]
	v_add_f64 v[118:119], v[92:93], v[88:89]
	v_add_f64 v[120:121], v[94:95], v[90:91]
	v_add_f64 v[122:123], v[92:93], -v[88:89]
	v_add_f64 v[124:125], v[94:95], -v[90:91]
	v_add_f64 v[96:97], v[100:101], v[96:97]
	v_add_f64 v[98:99], v[102:103], v[98:99]
	v_add_f64 v[88:89], v[88:89], -v[84:85]
	v_add_f64 v[90:91], v[90:91], -v[86:87]
	;; [unrolled: 1-line block ×4, first 2 shown]
	v_add_f64 v[84:85], v[118:119], v[84:85]
	v_add_f64 v[86:87], v[120:121], v[86:87]
	v_mul_f64 v[100:101], v[110:111], s[4:5]
	v_mul_f64 v[102:103], v[112:113], s[4:5]
	;; [unrolled: 1-line block ×6, first 2 shown]
	v_add_f64 v[80:81], v[80:81], v[96:97]
	v_add_f64 v[82:83], v[82:83], v[98:99]
	v_mul_f64 v[122:123], v[88:89], s[12:13]
	v_mul_f64 v[124:125], v[90:91], s[12:13]
	v_fma_f64 v[104:105], v[104:105], s[2:3], v[100:101]
	v_fma_f64 v[106:107], v[106:107], s[2:3], v[102:103]
	v_fma_f64 v[110:111], v[114:115], s[20:21], -v[110:111]
	v_fma_f64 v[112:113], v[116:117], s[20:21], -v[112:113]
	v_fma_f64 v[100:101], v[114:115], s[22:23], -v[100:101]
	v_fma_f64 v[102:103], v[116:117], s[22:23], -v[102:103]
	v_fma_f64 v[114:115], v[92:93], s[24:25], v[118:119]
	v_fma_f64 v[116:117], v[94:95], s[24:25], v[120:121]
	;; [unrolled: 1-line block ×4, first 2 shown]
	v_fma_f64 v[92:93], v[92:93], s[26:27], -v[122:123]
	v_fma_f64 v[94:95], v[94:95], s[26:27], -v[124:125]
	;; [unrolled: 1-line block ×4, first 2 shown]
	v_fma_f64 v[114:115], v[84:85], s[28:29], v[114:115]
	v_fma_f64 v[116:117], v[86:87], s[28:29], v[116:117]
	v_add_f64 v[104:105], v[104:105], v[96:97]
	v_add_f64 v[106:107], v[106:107], v[98:99]
	v_fma_f64 v[122:123], v[84:85], s[28:29], v[92:93]
	v_fma_f64 v[124:125], v[86:87], s[28:29], v[94:95]
	v_add_f64 v[100:101], v[100:101], v[96:97]
	v_add_f64 v[102:103], v[102:103], v[98:99]
	;; [unrolled: 4-line block ×3, first 2 shown]
	v_add_f64 v[84:85], v[116:117], v[104:105]
	v_add_f64 v[86:87], v[106:107], -v[114:115]
	v_add_f64 v[88:89], v[124:125], v[100:101]
	v_add_f64 v[90:91], v[102:103], -v[122:123]
	v_add_f64 v[100:101], v[100:101], -v[124:125]
	v_add_f64 v[102:103], v[122:123], v[102:103]
	v_add_f64 v[92:93], v[96:97], -v[120:121]
	v_add_f64 v[94:95], v[118:119], v[98:99]
	v_add_f64 v[96:97], v[120:121], v[96:97]
	v_add_f64 v[98:99], v[98:99], -v[118:119]
	v_add_f64 v[104:105], v[104:105], -v[116:117]
	v_add_f64 v[106:107], v[114:115], v[106:107]
	ds_write_b128 v140, v[80:83]
	ds_write_b128 v140, v[84:87] offset:560
	ds_write_b128 v140, v[88:91] offset:1120
	;; [unrolled: 1-line block ×6, first 2 shown]
	s_waitcnt lgkmcnt(0)
	s_barrier
	global_load_dwordx4 v[88:91], v[108:109], off offset:3840
	global_load_dwordx4 v[84:87], v[108:109], off offset:3856
	;; [unrolled: 1-line block ×6, first 2 shown]
	v_mov_b32_e32 v104, s15
	v_addc_co_u32_e32 v112, vcc, 0, v104, vcc
	ds_read_b128 v[104:107], v135 offset:3920
	ds_read_b128 v[108:111], v135 offset:7840
	;; [unrolled: 1-line block ×6, first 2 shown]
	ds_read_b128 v[141:144], v135
	v_add_co_u32_e32 v129, vcc, s14, v132
	s_mov_b32 s15, 0x8000
	v_addc_co_u32_e32 v130, vcc, 0, v112, vcc
	v_add_co_u32_e32 v145, vcc, s15, v132
	v_addc_co_u32_e32 v146, vcc, 0, v112, vcc
	v_add_co_u32_e32 v147, vcc, s30, v132
	v_addc_co_u32_e32 v148, vcc, 0, v112, vcc
	s_waitcnt vmcnt(5) lgkmcnt(6)
	v_mul_f64 v[149:150], v[106:107], v[90:91]
	v_mul_f64 v[151:152], v[104:105], v[90:91]
	s_waitcnt vmcnt(4) lgkmcnt(5)
	v_mul_f64 v[153:154], v[110:111], v[86:87]
	v_mul_f64 v[155:156], v[108:109], v[86:87]
	;; [unrolled: 3-line block ×4, first 2 shown]
	v_mul_f64 v[157:158], v[115:116], v[82:83]
	v_mul_f64 v[163:164], v[113:114], v[82:83]
	s_waitcnt vmcnt(0)
	v_mul_f64 v[169:170], v[123:124], v[94:95]
	v_mul_f64 v[171:172], v[121:122], v[94:95]
	v_fma_f64 v[104:105], v[104:105], v[88:89], -v[149:150]
	v_fma_f64 v[106:107], v[106:107], v[88:89], v[151:152]
	v_fma_f64 v[108:109], v[108:109], v[84:85], -v[153:154]
	v_fma_f64 v[110:111], v[110:111], v[84:85], v[155:156]
	v_fma_f64 v[117:118], v[117:118], v[96:97], -v[159:160]
	v_fma_f64 v[119:120], v[119:120], v[96:97], v[161:162]
	v_fma_f64 v[125:126], v[125:126], v[100:101], -v[165:166]
	v_fma_f64 v[127:128], v[127:128], v[100:101], v[167:168]
	v_fma_f64 v[113:114], v[113:114], v[80:81], -v[157:158]
	v_fma_f64 v[115:116], v[115:116], v[80:81], v[163:164]
	v_fma_f64 v[121:122], v[121:122], v[92:93], -v[169:170]
	v_fma_f64 v[123:124], v[123:124], v[92:93], v[171:172]
	v_add_f64 v[149:150], v[104:105], v[117:118]
	v_add_f64 v[151:152], v[106:107], v[119:120]
	;; [unrolled: 1-line block ×4, first 2 shown]
	v_add_f64 v[104:105], v[104:105], -v[117:118]
	v_add_f64 v[106:107], v[106:107], -v[119:120]
	v_add_f64 v[117:118], v[113:114], v[121:122]
	v_add_f64 v[119:120], v[115:116], v[123:124]
	v_add_f64 v[108:109], v[108:109], -v[125:126]
	v_add_f64 v[110:111], v[110:111], -v[127:128]
	;; [unrolled: 1-line block ×4, first 2 shown]
	v_add_f64 v[121:122], v[153:154], v[149:150]
	v_add_f64 v[123:124], v[155:156], v[151:152]
	v_add_f64 v[125:126], v[153:154], -v[149:150]
	v_add_f64 v[127:128], v[155:156], -v[151:152]
	;; [unrolled: 1-line block ×5, first 2 shown]
	v_add_f64 v[157:158], v[113:114], v[108:109]
	v_add_f64 v[155:156], v[119:120], -v[155:156]
	v_add_f64 v[161:162], v[113:114], -v[108:109]
	;; [unrolled: 1-line block ×4, first 2 shown]
	v_add_f64 v[117:118], v[117:118], v[121:122]
	v_add_f64 v[119:120], v[119:120], v[123:124]
	v_add_f64 v[159:160], v[115:116], v[110:111]
	v_add_f64 v[108:109], v[108:109], -v[104:105]
	v_add_f64 v[110:111], v[110:111], -v[106:107]
	;; [unrolled: 1-line block ×3, first 2 shown]
	v_add_f64 v[104:105], v[157:158], v[104:105]
	v_mul_f64 v[121:122], v[149:150], s[4:5]
	v_mul_f64 v[123:124], v[153:154], s[2:3]
	;; [unrolled: 1-line block ×6, first 2 shown]
	s_waitcnt lgkmcnt(0)
	v_add_f64 v[113:114], v[141:142], v[117:118]
	v_add_f64 v[115:116], v[143:144], v[119:120]
	;; [unrolled: 1-line block ×3, first 2 shown]
	v_mul_f64 v[159:160], v[108:109], s[12:13]
	v_mul_f64 v[167:168], v[110:111], s[12:13]
	v_fma_f64 v[141:142], v[153:154], s[2:3], v[121:122]
	v_fma_f64 v[123:124], v[125:126], s[20:21], -v[123:124]
	v_fma_f64 v[121:122], v[125:126], s[22:23], -v[121:122]
	v_fma_f64 v[125:126], v[155:156], s[2:3], v[149:150]
	v_fma_f64 v[143:144], v[127:128], s[20:21], -v[151:152]
	v_fma_f64 v[127:128], v[127:128], s[22:23], -v[149:150]
	v_fma_f64 v[149:150], v[163:164], s[24:25], v[157:158]
	v_fma_f64 v[151:152], v[165:166], s[24:25], v[161:162]
	;; [unrolled: 1-line block ×4, first 2 shown]
	v_fma_f64 v[108:109], v[108:109], s[12:13], -v[157:158]
	v_fma_f64 v[110:111], v[110:111], s[12:13], -v[161:162]
	;; [unrolled: 1-line block ×4, first 2 shown]
	v_fma_f64 v[149:150], v[104:105], s[28:29], v[149:150]
	v_fma_f64 v[151:152], v[106:107], s[28:29], v[151:152]
	v_add_f64 v[157:158], v[141:142], v[117:118]
	v_add_f64 v[159:160], v[125:126], v[119:120]
	v_fma_f64 v[108:109], v[104:105], s[28:29], v[108:109]
	v_fma_f64 v[110:111], v[106:107], s[28:29], v[110:111]
	v_add_f64 v[141:142], v[143:144], v[119:120]
	v_fma_f64 v[153:154], v[104:105], s[28:29], v[153:154]
	v_fma_f64 v[104:105], v[106:107], s[28:29], v[155:156]
	v_add_f64 v[106:107], v[121:122], v[117:118]
	v_add_f64 v[155:156], v[127:128], v[119:120]
	;; [unrolled: 1-line block ×4, first 2 shown]
	v_add_f64 v[119:120], v[159:160], -v[149:150]
	v_add_f64 v[123:124], v[108:109], v[141:142]
	v_add_f64 v[127:128], v[141:142], -v[108:109]
	v_add_f64 v[108:109], v[157:158], -v[151:152]
	v_add_f64 v[141:142], v[104:105], v[106:107]
	v_add_f64 v[143:144], v[155:156], -v[153:154]
	;; [unrolled: 3-line block ×3, first 2 shown]
	v_add_f64 v[106:107], v[153:154], v[155:156]
	v_add_f64 v[110:111], v[149:150], v[159:160]
	v_add_co_u32_e32 v149, vcc, s31, v132
	v_addc_co_u32_e32 v150, vcc, 0, v112, vcc
	ds_write_b128 v135, v[113:116]
	ds_write_b128 v135, v[117:120] offset:3920
	ds_write_b128 v135, v[141:144] offset:7840
	;; [unrolled: 1-line block ×6, first 2 shown]
	s_waitcnt lgkmcnt(0)
	s_barrier
	global_load_dwordx4 v[113:116], v[129:130], off offset:2864
	global_load_dwordx4 v[117:120], v[145:146], off offset:160
	;; [unrolled: 1-line block ×4, first 2 shown]
	v_add_co_u32_e32 v129, vcc, s33, v132
	v_addc_co_u32_e32 v130, vcc, 0, v112, vcc
	global_load_dwordx4 v[141:144], v[129:130], off offset:240
	ds_read_b128 v[145:148], v135
	ds_read_b128 v[149:152], v135 offset:5488
	ds_read_b128 v[153:156], v135 offset:10976
	;; [unrolled: 1-line block ×4, first 2 shown]
	s_waitcnt vmcnt(4) lgkmcnt(4)
	v_mul_f64 v[129:130], v[147:148], v[115:116]
	v_mul_f64 v[115:116], v[145:146], v[115:116]
	s_waitcnt vmcnt(3) lgkmcnt(3)
	v_mul_f64 v[165:166], v[151:152], v[119:120]
	v_mul_f64 v[119:120], v[149:150], v[119:120]
	;; [unrolled: 3-line block ×5, first 2 shown]
	v_fma_f64 v[127:128], v[145:146], v[113:114], -v[129:130]
	v_fma_f64 v[129:130], v[147:148], v[113:114], v[115:116]
	v_fma_f64 v[113:114], v[149:150], v[117:118], -v[165:166]
	v_fma_f64 v[115:116], v[151:152], v[117:118], v[119:120]
	;; [unrolled: 2-line block ×5, first 2 shown]
	ds_write_b128 v135, v[127:130]
	ds_write_b128 v135, v[113:116] offset:5488
	ds_write_b128 v135, v[117:120] offset:10976
	;; [unrolled: 1-line block ×4, first 2 shown]
	s_and_saveexec_b64 s[2:3], s[0:1]
	s_cbranch_execz .LBB0_9
; %bb.8:
	v_add_co_u32_e32 v128, vcc, 0x6b30, v132
	v_addc_co_u32_e32 v129, vcc, 0, v112, vcc
	s_movk_i32 s4, 0x2000
	v_add_co_u32_e32 v116, vcc, s4, v128
	v_addc_co_u32_e32 v117, vcc, 0, v129, vcc
	s_movk_i32 s4, 0x3000
	;; [unrolled: 3-line block ×3, first 2 shown]
	v_add_co_u32_e32 v124, vcc, s4, v128
	global_load_dwordx4 v[112:115], v[128:129], off offset:3920
	s_nop 0
	global_load_dwordx4 v[116:119], v[116:117], off offset:1216
	v_addc_co_u32_e32 v125, vcc, 0, v129, vcc
	v_add_co_u32_e32 v128, vcc, s14, v128
	global_load_dwordx4 v[120:123], v[120:121], off offset:2608
	s_nop 0
	global_load_dwordx4 v[124:127], v[124:125], off offset:4000
	v_addc_co_u32_e32 v129, vcc, 0, v129, vcc
	global_load_dwordx4 v[128:131], v[128:129], off offset:1296
	ds_read_b128 v[141:144], v135 offset:3920
	ds_read_b128 v[145:148], v135 offset:9408
	;; [unrolled: 1-line block ×5, first 2 shown]
	s_waitcnt vmcnt(4) lgkmcnt(4)
	v_mul_f64 v[161:162], v[143:144], v[114:115]
	v_mul_f64 v[114:115], v[141:142], v[114:115]
	s_waitcnt vmcnt(3) lgkmcnt(3)
	v_mul_f64 v[163:164], v[147:148], v[118:119]
	v_mul_f64 v[118:119], v[145:146], v[118:119]
	;; [unrolled: 3-line block ×5, first 2 shown]
	v_fma_f64 v[141:142], v[141:142], v[112:113], -v[161:162]
	v_fma_f64 v[143:144], v[143:144], v[112:113], v[114:115]
	v_fma_f64 v[112:113], v[145:146], v[116:117], -v[163:164]
	v_fma_f64 v[114:115], v[147:148], v[116:117], v[118:119]
	;; [unrolled: 2-line block ×5, first 2 shown]
	ds_write_b128 v135, v[141:144] offset:3920
	ds_write_b128 v135, v[112:115] offset:9408
	;; [unrolled: 1-line block ×5, first 2 shown]
.LBB0_9:
	s_or_b64 exec, exec, s[2:3]
	s_waitcnt lgkmcnt(0)
	s_barrier
	ds_read_b128 v[128:131], v135
	ds_read_b128 v[120:123], v135 offset:5488
	ds_read_b128 v[124:127], v135 offset:10976
	;; [unrolled: 1-line block ×4, first 2 shown]
	s_and_saveexec_b64 s[2:3], s[0:1]
	s_cbranch_execz .LBB0_11
; %bb.10:
	ds_read_b128 v[104:107], v135 offset:3920
	ds_read_b128 v[108:111], v135 offset:9408
	;; [unrolled: 1-line block ×5, first 2 shown]
.LBB0_11:
	s_or_b64 exec, exec, s[2:3]
	s_waitcnt lgkmcnt(1)
	v_add_f64 v[141:142], v[124:125], v[116:117]
	v_add_f64 v[143:144], v[128:129], v[120:121]
	s_waitcnt lgkmcnt(0)
	v_add_f64 v[145:146], v[122:123], -v[114:115]
	s_mov_b32 s2, 0x134454ff
	s_mov_b32 s3, 0xbfee6f0e
	v_add_f64 v[147:148], v[126:127], -v[118:119]
	v_add_f64 v[149:150], v[120:121], -v[124:125]
	;; [unrolled: 1-line block ×3, first 2 shown]
	v_fma_f64 v[141:142], v[141:142], -0.5, v[128:129]
	v_add_f64 v[153:154], v[120:121], v[112:113]
	v_add_f64 v[143:144], v[143:144], v[124:125]
	s_mov_b32 s4, 0x4755a5e
	s_mov_b32 s5, 0xbfe2cf23
	v_add_f64 v[163:164], v[122:123], v[114:115]
	s_mov_b32 s12, 0x372fe950
	v_add_f64 v[149:150], v[149:150], v[151:152]
	v_fma_f64 v[155:156], v[145:146], s[2:3], v[141:142]
	v_fma_f64 v[151:152], v[153:154], -0.5, v[128:129]
	v_add_f64 v[128:129], v[143:144], v[116:117]
	v_add_f64 v[153:154], v[126:127], v[118:119]
	s_mov_b32 s15, 0x3fee6f0e
	s_mov_b32 s14, s2
	s_mov_b32 s13, 0x3fd3c6ef
	v_add_f64 v[161:162], v[130:131], v[122:123]
	v_fma_f64 v[143:144], v[147:148], s[4:5], v[155:156]
	v_fma_f64 v[155:156], v[145:146], s[14:15], v[141:142]
	v_add_f64 v[157:158], v[124:125], -v[120:121]
	v_add_f64 v[159:160], v[116:117], -v[112:113]
	v_add_f64 v[128:129], v[128:129], v[112:113]
	v_add_f64 v[112:113], v[120:121], -v[112:113]
	v_add_f64 v[116:117], v[124:125], -v[116:117]
	v_fma_f64 v[124:125], v[163:164], -0.5, v[130:131]
	v_fma_f64 v[141:142], v[149:150], s[12:13], v[143:144]
	v_fma_f64 v[143:144], v[153:154], -0.5, v[130:131]
	s_mov_b32 s17, 0x3fe2cf23
	s_mov_b32 s16, s4
	v_fma_f64 v[165:166], v[147:148], s[14:15], v[151:152]
	v_fma_f64 v[120:121], v[147:148], s[16:17], v[155:156]
	;; [unrolled: 1-line block ×3, first 2 shown]
	v_add_f64 v[151:152], v[161:162], v[126:127]
	v_add_f64 v[153:154], v[157:158], v[159:160]
	v_fma_f64 v[155:156], v[112:113], s[14:15], v[143:144]
	v_add_f64 v[157:158], v[122:123], -v[126:127]
	v_add_f64 v[159:160], v[114:115], -v[118:119]
	v_fma_f64 v[161:162], v[116:117], s[2:3], v[124:125]
	v_add_f64 v[122:123], v[126:127], -v[122:123]
	v_add_f64 v[126:127], v[118:119], -v[114:115]
	v_fma_f64 v[124:125], v[116:117], s[14:15], v[124:125]
	v_fma_f64 v[143:144], v[112:113], s[2:3], v[143:144]
	;; [unrolled: 1-line block ×3, first 2 shown]
	v_add_f64 v[118:119], v[151:152], v[118:119]
	v_fma_f64 v[145:146], v[145:146], s[16:17], v[147:148]
	v_fma_f64 v[147:148], v[116:117], s[16:17], v[155:156]
	v_add_f64 v[151:152], v[157:158], v[159:160]
	v_fma_f64 v[155:156], v[112:113], s[16:17], v[161:162]
	v_add_f64 v[122:123], v[122:123], v[126:127]
	v_fma_f64 v[124:125], v[112:113], s[4:5], v[124:125]
	v_fma_f64 v[126:127], v[116:117], s[4:5], v[143:144]
	;; [unrolled: 1-line block ×3, first 2 shown]
	v_add_f64 v[130:131], v[118:119], v[114:115]
	v_fma_f64 v[112:113], v[149:150], s[12:13], v[120:121]
	v_fma_f64 v[143:144], v[151:152], s[12:13], v[147:148]
	;; [unrolled: 1-line block ×6, first 2 shown]
	s_barrier
	ds_write_b128 v138, v[128:131]
	ds_write_b128 v138, v[141:144] offset:16
	ds_write_b128 v138, v[116:119] offset:32
	;; [unrolled: 1-line block ×4, first 2 shown]
	s_and_saveexec_b64 s[18:19], s[0:1]
	s_cbranch_execz .LBB0_13
; %bb.12:
	v_add_f64 v[112:113], v[110:111], v[30:31]
	v_add_f64 v[118:119], v[20:21], -v[24:25]
	v_add_f64 v[122:123], v[22:23], v[26:27]
	v_add_f64 v[114:115], v[22:23], -v[110:111]
	v_add_f64 v[116:117], v[26:27], -v[30:31]
	;; [unrolled: 1-line block ×3, first 2 shown]
	v_add_f64 v[128:129], v[106:107], v[110:111]
	v_add_f64 v[147:148], v[20:21], v[24:25]
	v_fma_f64 v[112:113], v[112:113], -0.5, v[106:107]
	v_add_f64 v[124:125], v[110:111], -v[22:23]
	v_fma_f64 v[106:107], v[122:123], -0.5, v[106:107]
	v_add_f64 v[122:123], v[108:109], v[28:29]
	v_add_f64 v[126:127], v[30:31], -v[26:27]
	v_add_f64 v[149:150], v[104:105], v[108:109]
	v_add_f64 v[110:111], v[110:111], -v[30:31]
	v_add_f64 v[114:115], v[114:115], v[116:117]
	v_fma_f64 v[143:144], v[118:119], s[14:15], v[112:113]
	v_fma_f64 v[112:113], v[118:119], s[2:3], v[112:113]
	v_fma_f64 v[116:117], v[120:121], s[2:3], v[106:107]
	v_fma_f64 v[106:107], v[120:121], s[14:15], v[106:107]
	v_fma_f64 v[122:123], v[122:123], -0.5, v[104:105]
	v_fma_f64 v[104:105], v[147:148], -0.5, v[104:105]
	v_add_f64 v[145:146], v[22:23], -v[26:27]
	v_add_f64 v[130:131], v[20:21], -v[108:109]
	v_fma_f64 v[143:144], v[120:121], s[4:5], v[143:144]
	v_fma_f64 v[112:113], v[120:121], s[16:17], v[112:113]
	v_add_f64 v[120:121], v[124:125], v[126:127]
	v_add_f64 v[124:125], v[128:129], v[22:23]
	v_add_f64 v[108:109], v[108:109], -v[20:21]
	v_add_f64 v[20:21], v[149:150], v[20:21]
	v_fma_f64 v[116:117], v[118:119], s[4:5], v[116:117]
	v_fma_f64 v[118:119], v[118:119], s[16:17], v[106:107]
	;; [unrolled: 1-line block ×4, first 2 shown]
	v_add_f64 v[112:113], v[28:29], -v[24:25]
	v_fma_f64 v[114:115], v[110:111], s[2:3], v[104:105]
	v_add_f64 v[141:142], v[24:25], -v[28:29]
	v_fma_f64 v[126:127], v[145:146], s[14:15], v[122:123]
	v_fma_f64 v[122:123], v[145:146], s[2:3], v[122:123]
	;; [unrolled: 1-line block ×3, first 2 shown]
	v_add_f64 v[124:125], v[124:125], v[26:27]
	v_add_f64 v[20:21], v[20:21], v[24:25]
	;; [unrolled: 1-line block ×3, first 2 shown]
	v_fma_f64 v[24:25], v[145:146], s[4:5], v[114:115]
	v_add_f64 v[128:129], v[130:131], v[141:142]
	v_fma_f64 v[114:115], v[110:111], s[4:5], v[126:127]
	v_fma_f64 v[122:123], v[110:111], s[16:17], v[122:123]
	;; [unrolled: 1-line block ×3, first 2 shown]
	v_add_f64 v[30:31], v[124:125], v[30:31]
	v_add_f64 v[28:29], v[20:21], v[28:29]
	v_fma_f64 v[110:111], v[120:121], s[12:13], v[118:119]
	v_fma_f64 v[108:109], v[112:113], s[12:13], v[24:25]
	;; [unrolled: 1-line block ×6, first 2 shown]
	v_lshlrev_b32_e32 v112, 4, v137
	ds_write_b128 v112, v[28:31]
	ds_write_b128 v112, v[108:111] offset:16
	ds_write_b128 v112, v[104:107] offset:32
	;; [unrolled: 1-line block ×4, first 2 shown]
.LBB0_13:
	s_or_b64 exec, exec, s[18:19]
	s_waitcnt lgkmcnt(0)
	s_barrier
	ds_read_b128 v[20:23], v135 offset:3920
	ds_read_b128 v[24:27], v135 offset:7840
	;; [unrolled: 1-line block ×3, first 2 shown]
	ds_read_b128 v[104:107], v135
	ds_read_b128 v[108:111], v135 offset:15680
	ds_read_b128 v[112:115], v135 offset:19600
	;; [unrolled: 1-line block ×3, first 2 shown]
	s_mov_b32 s4, 0x37e14327
	s_waitcnt lgkmcnt(6)
	v_mul_f64 v[120:121], v[46:47], v[22:23]
	v_mul_f64 v[46:47], v[46:47], v[20:21]
	s_waitcnt lgkmcnt(5)
	v_mul_f64 v[122:123], v[42:43], v[26:27]
	v_mul_f64 v[42:43], v[42:43], v[24:25]
	s_mov_b32 s2, 0x36b3c0b5
	s_mov_b32 s14, 0xe976ee23
	;; [unrolled: 1-line block ×4, first 2 shown]
	v_fma_f64 v[20:21], v[44:45], v[20:21], v[120:121]
	v_fma_f64 v[22:23], v[44:45], v[22:23], -v[46:47]
	v_fma_f64 v[24:25], v[40:41], v[24:25], v[122:123]
	v_fma_f64 v[26:27], v[40:41], v[26:27], -v[42:43]
	s_waitcnt lgkmcnt(0)
	v_mul_f64 v[40:41], v[50:51], v[118:119]
	v_mul_f64 v[42:43], v[50:51], v[116:117]
	;; [unrolled: 1-line block ×8, first 2 shown]
	v_fma_f64 v[40:41], v[48:49], v[116:117], v[40:41]
	v_fma_f64 v[42:43], v[48:49], v[118:119], -v[42:43]
	v_fma_f64 v[28:29], v[36:37], v[28:29], v[44:45]
	v_fma_f64 v[30:31], v[36:37], v[30:31], -v[38:39]
	;; [unrolled: 2-line block ×4, first 2 shown]
	v_add_f64 v[34:35], v[20:21], v[40:41]
	v_add_f64 v[46:47], v[22:23], v[42:43]
	v_add_f64 v[20:21], v[20:21], -v[40:41]
	v_add_f64 v[22:23], v[22:23], -v[42:43]
	v_add_f64 v[40:41], v[24:25], v[36:37]
	v_add_f64 v[42:43], v[26:27], v[38:39]
	v_add_f64 v[24:25], v[24:25], -v[36:37]
	v_add_f64 v[26:27], v[26:27], -v[38:39]
	;; [unrolled: 4-line block ×4, first 2 shown]
	v_add_f64 v[34:35], v[34:35], -v[36:37]
	v_add_f64 v[46:47], v[46:47], -v[38:39]
	;; [unrolled: 1-line block ×4, first 2 shown]
	v_add_f64 v[52:53], v[28:29], v[24:25]
	v_add_f64 v[54:55], v[30:31], v[26:27]
	v_add_f64 v[108:109], v[28:29], -v[24:25]
	v_add_f64 v[110:111], v[30:31], -v[26:27]
	v_add_f64 v[32:33], v[36:37], v[32:33]
	v_add_f64 v[36:37], v[38:39], v[44:45]
	v_add_f64 v[24:25], v[24:25], -v[20:21]
	v_add_f64 v[26:27], v[26:27], -v[22:23]
	s_mov_b32 s15, 0x3fe11646
	s_mov_b32 s12, 0x429ad128
	v_add_f64 v[28:29], v[20:21], -v[28:29]
	v_add_f64 v[30:31], v[22:23], -v[30:31]
	v_add_f64 v[38:39], v[52:53], v[20:21]
	v_add_f64 v[44:45], v[54:55], v[22:23]
	v_add_f64 v[20:21], v[104:105], v[32:33]
	v_add_f64 v[22:23], v[106:107], v[36:37]
	v_mul_f64 v[34:35], v[34:35], s[4:5]
	v_mul_f64 v[46:47], v[46:47], s[4:5]
	;; [unrolled: 1-line block ×6, first 2 shown]
	s_mov_b32 s13, 0xbfebfeb5
	v_mul_f64 v[108:109], v[24:25], s[12:13]
	v_mul_f64 v[110:111], v[26:27], s[12:13]
	s_mov_b32 s16, 0xaaaaaaaa
	s_mov_b32 s18, 0x5476071b
	;; [unrolled: 1-line block ×8, first 2 shown]
	v_fma_f64 v[32:33], v[32:33], s[16:17], v[20:21]
	v_fma_f64 v[36:37], v[36:37], s[16:17], v[22:23]
	;; [unrolled: 1-line block ×4, first 2 shown]
	v_fma_f64 v[52:53], v[48:49], s[18:19], -v[52:53]
	v_fma_f64 v[54:55], v[50:51], s[18:19], -v[54:55]
	;; [unrolled: 1-line block ×4, first 2 shown]
	v_fma_f64 v[48:49], v[28:29], s[22:23], v[104:105]
	v_fma_f64 v[50:51], v[30:31], s[22:23], v[106:107]
	s_mov_b32 s27, 0x3fd5d0dc
	s_mov_b32 s26, s22
	v_fma_f64 v[28:29], v[28:29], s[26:27], -v[108:109]
	v_fma_f64 v[30:31], v[30:31], s[26:27], -v[110:111]
	;; [unrolled: 1-line block ×4, first 2 shown]
	s_mov_b32 s24, 0x37c3f68c
	s_mov_b32 s25, 0xbfdc38aa
	v_add_f64 v[104:105], v[40:41], v[32:33]
	v_add_f64 v[106:107], v[42:43], v[36:37]
	v_fma_f64 v[50:51], v[44:45], s[24:25], v[50:51]
	v_fma_f64 v[48:49], v[38:39], s[24:25], v[48:49]
	v_add_f64 v[40:41], v[52:53], v[32:33]
	v_add_f64 v[42:43], v[54:55], v[36:37]
	;; [unrolled: 1-line block ×4, first 2 shown]
	v_fma_f64 v[54:55], v[44:45], s[24:25], v[30:31]
	v_fma_f64 v[108:109], v[38:39], s[24:25], v[28:29]
	;; [unrolled: 1-line block ×4, first 2 shown]
	v_add_f64 v[24:25], v[50:51], v[104:105]
	v_add_f64 v[26:27], v[106:107], -v[48:49]
	v_add_f64 v[44:45], v[104:105], -v[50:51]
	v_add_f64 v[28:29], v[54:55], v[52:53]
	v_add_f64 v[30:31], v[46:47], -v[108:109]
	v_add_f64 v[32:33], v[40:41], -v[36:37]
	v_add_f64 v[34:35], v[38:39], v[42:43]
	v_add_f64 v[36:37], v[36:37], v[40:41]
	v_add_f64 v[38:39], v[42:43], -v[38:39]
	v_add_f64 v[40:41], v[52:53], -v[54:55]
	v_add_f64 v[42:43], v[108:109], v[46:47]
	v_add_f64 v[46:47], v[48:49], v[106:107]
	s_barrier
	ds_write_b128 v139, v[20:23]
	ds_write_b128 v139, v[24:27] offset:80
	ds_write_b128 v139, v[28:31] offset:160
	;; [unrolled: 1-line block ×6, first 2 shown]
	s_waitcnt lgkmcnt(0)
	s_barrier
	ds_read_b128 v[20:23], v135 offset:3920
	ds_read_b128 v[24:27], v135 offset:7840
	;; [unrolled: 1-line block ×3, first 2 shown]
	ds_read_b128 v[32:35], v135
	ds_read_b128 v[36:39], v135 offset:15680
	ds_read_b128 v[40:43], v135 offset:19600
	;; [unrolled: 1-line block ×3, first 2 shown]
	s_waitcnt lgkmcnt(0)
	v_mul_f64 v[48:49], v[70:71], v[22:23]
	v_mul_f64 v[50:51], v[70:71], v[20:21]
	v_mul_f64 v[52:53], v[66:67], v[26:27]
	v_mul_f64 v[54:55], v[66:67], v[24:25]
	v_mul_f64 v[66:67], v[58:59], v[38:39]
	v_mul_f64 v[58:59], v[58:59], v[36:37]
	s_barrier
	v_fma_f64 v[20:21], v[68:69], v[20:21], v[48:49]
	v_fma_f64 v[22:23], v[68:69], v[22:23], -v[50:51]
	v_fma_f64 v[24:25], v[64:65], v[24:25], v[52:53]
	v_fma_f64 v[26:27], v[64:65], v[26:27], -v[54:55]
	v_mul_f64 v[48:49], v[74:75], v[46:47]
	v_mul_f64 v[50:51], v[74:75], v[44:45]
	;; [unrolled: 1-line block ×6, first 2 shown]
	v_fma_f64 v[36:37], v[56:57], v[36:37], v[66:67]
	v_fma_f64 v[38:39], v[56:57], v[38:39], -v[58:59]
	v_fma_f64 v[44:45], v[72:73], v[44:45], v[48:49]
	v_fma_f64 v[46:47], v[72:73], v[46:47], -v[50:51]
	;; [unrolled: 2-line block ×4, first 2 shown]
	v_add_f64 v[48:49], v[20:21], v[44:45]
	v_add_f64 v[50:51], v[22:23], v[46:47]
	v_add_f64 v[20:21], v[20:21], -v[44:45]
	v_add_f64 v[22:23], v[22:23], -v[46:47]
	v_add_f64 v[44:45], v[24:25], v[40:41]
	v_add_f64 v[46:47], v[26:27], v[42:43]
	v_add_f64 v[24:25], v[24:25], -v[40:41]
	v_add_f64 v[26:27], v[26:27], -v[42:43]
	;; [unrolled: 4-line block ×4, first 2 shown]
	v_add_f64 v[48:49], v[48:49], -v[40:41]
	v_add_f64 v[50:51], v[50:51], -v[42:43]
	v_add_f64 v[44:45], v[40:41], -v[44:45]
	v_add_f64 v[46:47], v[42:43], -v[46:47]
	v_add_f64 v[56:57], v[28:29], v[24:25]
	v_add_f64 v[58:59], v[30:31], v[26:27]
	v_add_f64 v[60:61], v[28:29], -v[24:25]
	v_add_f64 v[62:63], v[30:31], -v[26:27]
	v_add_f64 v[36:37], v[40:41], v[36:37]
	v_add_f64 v[38:39], v[42:43], v[38:39]
	v_add_f64 v[24:25], v[24:25], -v[20:21]
	v_add_f64 v[26:27], v[26:27], -v[22:23]
	;; [unrolled: 1-line block ×4, first 2 shown]
	v_add_f64 v[40:41], v[56:57], v[20:21]
	v_add_f64 v[42:43], v[58:59], v[22:23]
	;; [unrolled: 1-line block ×4, first 2 shown]
	v_mul_f64 v[32:33], v[48:49], s[4:5]
	v_mul_f64 v[34:35], v[50:51], s[4:5]
	;; [unrolled: 1-line block ×8, first 2 shown]
	v_fma_f64 v[36:37], v[36:37], s[16:17], v[20:21]
	v_fma_f64 v[38:39], v[38:39], s[16:17], v[22:23]
	v_fma_f64 v[44:45], v[44:45], s[2:3], v[32:33]
	v_fma_f64 v[46:47], v[46:47], s[2:3], v[34:35]
	v_fma_f64 v[48:49], v[52:53], s[18:19], -v[48:49]
	v_fma_f64 v[50:51], v[54:55], s[18:19], -v[50:51]
	;; [unrolled: 1-line block ×4, first 2 shown]
	v_fma_f64 v[52:53], v[28:29], s[22:23], v[56:57]
	v_fma_f64 v[54:55], v[30:31], s[22:23], v[58:59]
	v_fma_f64 v[28:29], v[28:29], s[26:27], -v[60:61]
	v_fma_f64 v[30:31], v[30:31], s[26:27], -v[62:63]
	;; [unrolled: 1-line block ×4, first 2 shown]
	v_add_f64 v[44:45], v[44:45], v[36:37]
	v_add_f64 v[46:47], v[46:47], v[38:39]
	v_fma_f64 v[52:53], v[40:41], s[24:25], v[52:53]
	v_fma_f64 v[54:55], v[42:43], s[24:25], v[54:55]
	v_add_f64 v[56:57], v[32:33], v[36:37]
	v_add_f64 v[58:59], v[34:35], v[38:39]
	v_fma_f64 v[60:61], v[42:43], s[24:25], v[30:31]
	v_fma_f64 v[62:63], v[40:41], s[24:25], v[28:29]
	;; [unrolled: 4-line block ×3, first 2 shown]
	v_add_f64 v[24:25], v[54:55], v[44:45]
	v_add_f64 v[26:27], v[46:47], -v[52:53]
	v_add_f64 v[28:29], v[60:61], v[56:57]
	v_add_f64 v[30:31], v[58:59], -v[62:63]
	v_add_f64 v[40:41], v[56:57], -v[60:61]
	v_add_f64 v[42:43], v[62:63], v[58:59]
	v_add_f64 v[32:33], v[48:49], -v[36:37]
	v_add_f64 v[34:35], v[38:39], v[50:51]
	v_add_f64 v[36:37], v[36:37], v[48:49]
	v_add_f64 v[38:39], v[50:51], -v[38:39]
	v_add_f64 v[44:45], v[44:45], -v[54:55]
	v_add_f64 v[46:47], v[52:53], v[46:47]
	ds_write_b128 v140, v[20:23]
	ds_write_b128 v140, v[24:27] offset:560
	ds_write_b128 v140, v[28:31] offset:1120
	;; [unrolled: 1-line block ×6, first 2 shown]
	s_waitcnt lgkmcnt(0)
	s_barrier
	ds_read_b128 v[20:23], v135 offset:3920
	ds_read_b128 v[24:27], v135 offset:7840
	;; [unrolled: 1-line block ×3, first 2 shown]
	ds_read_b128 v[32:35], v135
	ds_read_b128 v[36:39], v135 offset:15680
	ds_read_b128 v[40:43], v135 offset:19600
	;; [unrolled: 1-line block ×3, first 2 shown]
	s_waitcnt lgkmcnt(6)
	v_mul_f64 v[48:49], v[90:91], v[22:23]
	v_mul_f64 v[50:51], v[90:91], v[20:21]
	s_waitcnt lgkmcnt(5)
	v_mul_f64 v[52:53], v[86:87], v[26:27]
	v_mul_f64 v[54:55], v[86:87], v[24:25]
	;; [unrolled: 3-line block ×3, first 2 shown]
	v_mul_f64 v[60:61], v[94:95], v[38:39]
	v_mul_f64 v[62:63], v[94:95], v[36:37]
	v_fma_f64 v[20:21], v[88:89], v[20:21], v[48:49]
	v_fma_f64 v[22:23], v[88:89], v[22:23], -v[50:51]
	s_waitcnt lgkmcnt(0)
	v_mul_f64 v[48:49], v[98:99], v[46:47]
	v_mul_f64 v[50:51], v[98:99], v[44:45]
	v_fma_f64 v[24:25], v[84:85], v[24:25], v[52:53]
	v_fma_f64 v[26:27], v[84:85], v[26:27], -v[54:55]
	v_mul_f64 v[52:53], v[82:83], v[30:31]
	v_mul_f64 v[54:55], v[82:83], v[28:29]
	v_fma_f64 v[40:41], v[100:101], v[40:41], v[56:57]
	v_fma_f64 v[42:43], v[100:101], v[42:43], -v[58:59]
	v_fma_f64 v[44:45], v[96:97], v[44:45], v[48:49]
	v_fma_f64 v[46:47], v[96:97], v[46:47], -v[50:51]
	;; [unrolled: 2-line block ×4, first 2 shown]
	v_add_f64 v[48:49], v[20:21], v[44:45]
	v_add_f64 v[50:51], v[22:23], v[46:47]
	v_add_f64 v[20:21], v[20:21], -v[44:45]
	v_add_f64 v[22:23], v[22:23], -v[46:47]
	v_add_f64 v[44:45], v[24:25], v[40:41]
	v_add_f64 v[46:47], v[26:27], v[42:43]
	v_add_f64 v[24:25], v[24:25], -v[40:41]
	v_add_f64 v[26:27], v[26:27], -v[42:43]
	v_add_f64 v[40:41], v[28:29], v[36:37]
	v_add_f64 v[42:43], v[30:31], v[38:39]
	v_add_f64 v[28:29], v[36:37], -v[28:29]
	v_add_f64 v[30:31], v[38:39], -v[30:31]
	v_add_f64 v[36:37], v[44:45], v[48:49]
	v_add_f64 v[38:39], v[46:47], v[50:51]
	v_add_f64 v[52:53], v[44:45], -v[48:49]
	v_add_f64 v[54:55], v[46:47], -v[50:51]
	v_add_f64 v[48:49], v[48:49], -v[40:41]
	v_add_f64 v[50:51], v[50:51], -v[42:43]
	v_add_f64 v[44:45], v[40:41], -v[44:45]
	v_add_f64 v[46:47], v[42:43], -v[46:47]
	v_add_f64 v[56:57], v[28:29], v[24:25]
	v_add_f64 v[58:59], v[30:31], v[26:27]
	v_add_f64 v[60:61], v[28:29], -v[24:25]
	v_add_f64 v[62:63], v[30:31], -v[26:27]
	v_add_f64 v[36:37], v[40:41], v[36:37]
	v_add_f64 v[38:39], v[42:43], v[38:39]
	v_add_f64 v[24:25], v[24:25], -v[20:21]
	v_add_f64 v[26:27], v[26:27], -v[22:23]
	;; [unrolled: 1-line block ×4, first 2 shown]
	v_add_f64 v[40:41], v[56:57], v[20:21]
	v_add_f64 v[42:43], v[58:59], v[22:23]
	;; [unrolled: 1-line block ×4, first 2 shown]
	v_mul_f64 v[32:33], v[48:49], s[4:5]
	v_mul_f64 v[34:35], v[50:51], s[4:5]
	v_mul_f64 v[48:49], v[44:45], s[2:3]
	v_mul_f64 v[50:51], v[46:47], s[2:3]
	v_mul_f64 v[56:57], v[60:61], s[14:15]
	v_mul_f64 v[58:59], v[62:63], s[14:15]
	v_mul_f64 v[60:61], v[24:25], s[12:13]
	v_mul_f64 v[62:63], v[26:27], s[12:13]
	v_fma_f64 v[36:37], v[36:37], s[16:17], v[20:21]
	v_fma_f64 v[38:39], v[38:39], s[16:17], v[22:23]
	;; [unrolled: 1-line block ×4, first 2 shown]
	v_fma_f64 v[48:49], v[52:53], s[18:19], -v[48:49]
	v_fma_f64 v[50:51], v[54:55], s[18:19], -v[50:51]
	v_fma_f64 v[32:33], v[52:53], s[20:21], -v[32:33]
	v_fma_f64 v[34:35], v[54:55], s[20:21], -v[34:35]
	v_fma_f64 v[52:53], v[28:29], s[22:23], v[56:57]
	v_fma_f64 v[54:55], v[30:31], s[22:23], v[58:59]
	v_fma_f64 v[28:29], v[28:29], s[26:27], -v[60:61]
	v_fma_f64 v[30:31], v[30:31], s[26:27], -v[62:63]
	;; [unrolled: 1-line block ×4, first 2 shown]
	v_add_f64 v[44:45], v[44:45], v[36:37]
	v_add_f64 v[46:47], v[46:47], v[38:39]
	v_fma_f64 v[52:53], v[40:41], s[24:25], v[52:53]
	v_fma_f64 v[54:55], v[42:43], s[24:25], v[54:55]
	v_add_f64 v[56:57], v[32:33], v[36:37]
	v_add_f64 v[58:59], v[34:35], v[38:39]
	v_fma_f64 v[60:61], v[42:43], s[24:25], v[30:31]
	v_fma_f64 v[62:63], v[40:41], s[24:25], v[28:29]
	v_add_f64 v[48:49], v[48:49], v[36:37]
	v_add_f64 v[50:51], v[50:51], v[38:39]
	v_fma_f64 v[36:37], v[42:43], s[24:25], v[26:27]
	v_fma_f64 v[38:39], v[40:41], s[24:25], v[24:25]
	v_add_f64 v[24:25], v[54:55], v[44:45]
	v_add_f64 v[26:27], v[46:47], -v[52:53]
	v_add_f64 v[28:29], v[60:61], v[56:57]
	v_add_f64 v[30:31], v[58:59], -v[62:63]
	v_add_f64 v[40:41], v[56:57], -v[60:61]
	v_add_f64 v[42:43], v[62:63], v[58:59]
	v_add_f64 v[32:33], v[48:49], -v[36:37]
	v_add_f64 v[34:35], v[38:39], v[50:51]
	v_add_f64 v[36:37], v[36:37], v[48:49]
	v_add_f64 v[38:39], v[50:51], -v[38:39]
	v_add_f64 v[44:45], v[44:45], -v[54:55]
	v_add_f64 v[46:47], v[52:53], v[46:47]
	ds_write_b128 v135, v[20:23]
	ds_write_b128 v135, v[24:27] offset:3920
	ds_write_b128 v135, v[28:31] offset:7840
	;; [unrolled: 1-line block ×6, first 2 shown]
	s_waitcnt lgkmcnt(0)
	s_barrier
	ds_read_b128 v[20:23], v135
	ds_read_b128 v[24:27], v135 offset:5488
	v_mad_u64_u32 v[28:29], s[2:3], s10, v134, 0
	s_mul_i32 s4, s9, 0x157
	s_waitcnt lgkmcnt(1)
	v_mul_f64 v[30:31], v[6:7], v[22:23]
	v_mul_f64 v[6:7], v[6:7], v[20:21]
	s_mul_hi_u32 s5, s8, 0x157
	s_add_i32 s5, s5, s4
	s_mul_i32 s4, s8, 0x157
	s_lshl_b64 s[4:5], s[4:5], 4
	v_mad_u64_u32 v[32:33], s[2:3], s11, v134, v[29:30]
	v_mad_u64_u32 v[33:34], s[2:3], s8, v136, 0
	v_fma_f64 v[20:21], v[4:5], v[20:21], v[30:31]
	v_fma_f64 v[6:7], v[4:5], v[22:23], -v[6:7]
	v_mov_b32_e32 v4, v34
	v_mad_u64_u32 v[22:23], s[2:3], s9, v136, v[4:5]
	s_mov_b32 s2, 0xde1d8e4
	s_mov_b32 s3, 0x3f431b51
	v_mov_b32_e32 v34, v22
	s_waitcnt lgkmcnt(0)
	v_mul_f64 v[22:23], v[18:19], v[26:27]
	v_mov_b32_e32 v29, v32
	v_mul_f64 v[4:5], v[20:21], s[2:3]
	v_mul_f64 v[6:7], v[6:7], s[2:3]
	v_lshlrev_b64 v[20:21], 4, v[28:29]
	v_mov_b32_e32 v28, s7
	v_add_co_u32_e32 v29, vcc, s6, v20
	v_addc_co_u32_e32 v30, vcc, v28, v21, vcc
	v_lshlrev_b64 v[20:21], 4, v[33:34]
	v_mul_f64 v[18:19], v[18:19], v[24:25]
	v_fma_f64 v[22:23], v[16:17], v[24:25], v[22:23]
	v_add_co_u32_e32 v28, vcc, v29, v20
	v_addc_co_u32_e32 v29, vcc, v30, v21, vcc
	global_store_dwordx4 v[28:29], v[4:7], off
	ds_read_b128 v[4:7], v135 offset:10976
	v_fma_f64 v[18:19], v[16:17], v[26:27], -v[18:19]
	v_mul_f64 v[16:17], v[22:23], s[2:3]
	ds_read_b128 v[20:23], v135 offset:16464
	ds_read_b128 v[24:27], v135 offset:21952
	s_waitcnt lgkmcnt(2)
	v_mul_f64 v[30:31], v[2:3], v[6:7]
	v_mul_f64 v[2:3], v[2:3], v[4:5]
	v_mov_b32_e32 v32, s5
	v_add_co_u32_e32 v28, vcc, s4, v28
	v_mul_f64 v[18:19], v[18:19], s[2:3]
	v_addc_co_u32_e32 v29, vcc, v29, v32, vcc
	v_fma_f64 v[4:5], v[0:1], v[4:5], v[30:31]
	v_fma_f64 v[2:3], v[0:1], v[6:7], -v[2:3]
	s_waitcnt lgkmcnt(1)
	v_mul_f64 v[6:7], v[10:11], v[22:23]
	v_mul_f64 v[10:11], v[10:11], v[20:21]
	s_waitcnt lgkmcnt(0)
	v_mul_f64 v[30:31], v[14:15], v[26:27]
	v_mul_f64 v[14:15], v[14:15], v[24:25]
	global_store_dwordx4 v[28:29], v[16:19], off
	v_mul_f64 v[0:1], v[4:5], s[2:3]
	v_mul_f64 v[2:3], v[2:3], s[2:3]
	v_fma_f64 v[4:5], v[8:9], v[20:21], v[6:7]
	v_fma_f64 v[6:7], v[8:9], v[22:23], -v[10:11]
	v_fma_f64 v[8:9], v[12:13], v[24:25], v[30:31]
	v_fma_f64 v[10:11], v[12:13], v[26:27], -v[14:15]
	v_add_co_u32_e32 v12, vcc, s4, v28
	v_addc_co_u32_e32 v13, vcc, v29, v32, vcc
	v_mul_f64 v[4:5], v[4:5], s[2:3]
	v_mul_f64 v[6:7], v[6:7], s[2:3]
	;; [unrolled: 1-line block ×4, first 2 shown]
	global_store_dwordx4 v[12:13], v[0:3], off
	s_nop 0
	v_add_co_u32_e32 v0, vcc, s4, v12
	v_addc_co_u32_e32 v1, vcc, v13, v32, vcc
	global_store_dwordx4 v[0:1], v[4:7], off
	v_add_co_u32_e32 v0, vcc, s4, v0
	v_addc_co_u32_e32 v1, vcc, v1, v32, vcc
	global_store_dwordx4 v[0:1], v[8:11], off
	s_and_b64 exec, exec, s[0:1]
	s_cbranch_execz .LBB0_15
; %bb.14:
	s_movk_i32 s0, 0x2000
	v_add_co_u32_e32 v14, vcc, s0, v132
	v_addc_co_u32_e32 v15, vcc, 0, v133, vcc
	s_movk_i32 s0, 0x3000
	v_add_co_u32_e32 v16, vcc, s0, v132
	v_addc_co_u32_e32 v17, vcc, 0, v133, vcc
	s_movk_i32 s0, 0x4000
	global_load_dwordx4 v[2:5], v[132:133], off offset:3920
	global_load_dwordx4 v[6:9], v[14:15], off offset:1216
	;; [unrolled: 1-line block ×3, first 2 shown]
	v_add_co_u32_e32 v14, vcc, s0, v132
	v_addc_co_u32_e32 v15, vcc, 0, v133, vcc
	s_movk_i32 s0, 0x6000
	v_add_co_u32_e32 v18, vcc, s0, v132
	global_load_dwordx4 v[14:17], v[14:15], off offset:4000
	v_addc_co_u32_e32 v19, vcc, 0, v133, vcc
	global_load_dwordx4 v[18:21], v[18:19], off offset:1296
	ds_read_b128 v[22:25], v135 offset:3920
	ds_read_b128 v[26:29], v135 offset:9408
	v_mov_b32_e32 v30, 0xffffb990
	v_mad_u64_u32 v[42:43], s[0:1], s8, v30, v[0:1]
	ds_read_b128 v[30:33], v135 offset:14896
	ds_read_b128 v[34:37], v135 offset:20384
	;; [unrolled: 1-line block ×3, first 2 shown]
	s_mul_i32 s6, s9, 0xffffb990
	s_sub_i32 s0, s6, s8
	v_mov_b32_e32 v58, s5
	v_add_u32_e32 v43, s0, v43
	v_add_co_u32_e32 v44, vcc, s4, v42
	v_addc_co_u32_e32 v45, vcc, v43, v58, vcc
	v_add_co_u32_e32 v46, vcc, s4, v44
	v_addc_co_u32_e32 v47, vcc, v45, v58, vcc
	;; [unrolled: 2-line block ×3, first 2 shown]
	s_waitcnt vmcnt(4) lgkmcnt(4)
	v_mul_f64 v[0:1], v[24:25], v[4:5]
	v_mul_f64 v[4:5], v[22:23], v[4:5]
	s_waitcnt vmcnt(3) lgkmcnt(3)
	v_mul_f64 v[50:51], v[28:29], v[8:9]
	v_mul_f64 v[8:9], v[26:27], v[8:9]
	;; [unrolled: 3-line block ×3, first 2 shown]
	v_fma_f64 v[0:1], v[22:23], v[2:3], v[0:1]
	s_waitcnt vmcnt(1) lgkmcnt(1)
	v_mul_f64 v[54:55], v[36:37], v[16:17]
	v_mul_f64 v[16:17], v[34:35], v[16:17]
	v_fma_f64 v[2:3], v[2:3], v[24:25], -v[4:5]
	s_waitcnt vmcnt(0) lgkmcnt(0)
	v_mul_f64 v[56:57], v[40:41], v[20:21]
	v_mul_f64 v[20:21], v[38:39], v[20:21]
	v_fma_f64 v[4:5], v[26:27], v[6:7], v[50:51]
	v_fma_f64 v[6:7], v[6:7], v[28:29], -v[8:9]
	v_fma_f64 v[8:9], v[30:31], v[10:11], v[52:53]
	v_fma_f64 v[10:11], v[10:11], v[32:33], -v[12:13]
	;; [unrolled: 2-line block ×4, first 2 shown]
	v_mul_f64 v[0:1], v[0:1], s[2:3]
	v_mul_f64 v[2:3], v[2:3], s[2:3]
	;; [unrolled: 1-line block ×10, first 2 shown]
	v_add_co_u32_e32 v20, vcc, s4, v48
	v_addc_co_u32_e32 v21, vcc, v49, v58, vcc
	global_store_dwordx4 v[42:43], v[0:3], off
	global_store_dwordx4 v[44:45], v[4:7], off
	global_store_dwordx4 v[46:47], v[8:11], off
	global_store_dwordx4 v[48:49], v[12:15], off
	global_store_dwordx4 v[20:21], v[16:19], off
.LBB0_15:
	s_endpgm
	.section	.rodata,"a",@progbits
	.p2align	6, 0x0
	.amdhsa_kernel bluestein_single_fwd_len1715_dim1_dp_op_CI_CI
		.amdhsa_group_segment_fixed_size 27440
		.amdhsa_private_segment_fixed_size 0
		.amdhsa_kernarg_size 104
		.amdhsa_user_sgpr_count 6
		.amdhsa_user_sgpr_private_segment_buffer 1
		.amdhsa_user_sgpr_dispatch_ptr 0
		.amdhsa_user_sgpr_queue_ptr 0
		.amdhsa_user_sgpr_kernarg_segment_ptr 1
		.amdhsa_user_sgpr_dispatch_id 0
		.amdhsa_user_sgpr_flat_scratch_init 0
		.amdhsa_user_sgpr_private_segment_size 0
		.amdhsa_uses_dynamic_stack 0
		.amdhsa_system_sgpr_private_segment_wavefront_offset 0
		.amdhsa_system_sgpr_workgroup_id_x 1
		.amdhsa_system_sgpr_workgroup_id_y 0
		.amdhsa_system_sgpr_workgroup_id_z 0
		.amdhsa_system_sgpr_workgroup_info 0
		.amdhsa_system_vgpr_workitem_id 0
		.amdhsa_next_free_vgpr 177
		.amdhsa_next_free_sgpr 34
		.amdhsa_reserve_vcc 1
		.amdhsa_reserve_flat_scratch 0
		.amdhsa_float_round_mode_32 0
		.amdhsa_float_round_mode_16_64 0
		.amdhsa_float_denorm_mode_32 3
		.amdhsa_float_denorm_mode_16_64 3
		.amdhsa_dx10_clamp 1
		.amdhsa_ieee_mode 1
		.amdhsa_fp16_overflow 0
		.amdhsa_exception_fp_ieee_invalid_op 0
		.amdhsa_exception_fp_denorm_src 0
		.amdhsa_exception_fp_ieee_div_zero 0
		.amdhsa_exception_fp_ieee_overflow 0
		.amdhsa_exception_fp_ieee_underflow 0
		.amdhsa_exception_fp_ieee_inexact 0
		.amdhsa_exception_int_div_zero 0
	.end_amdhsa_kernel
	.text
.Lfunc_end0:
	.size	bluestein_single_fwd_len1715_dim1_dp_op_CI_CI, .Lfunc_end0-bluestein_single_fwd_len1715_dim1_dp_op_CI_CI
                                        ; -- End function
	.section	.AMDGPU.csdata,"",@progbits
; Kernel info:
; codeLenInByte = 11744
; NumSgprs: 38
; NumVgprs: 177
; ScratchSize: 0
; MemoryBound: 0
; FloatMode: 240
; IeeeMode: 1
; LDSByteSize: 27440 bytes/workgroup (compile time only)
; SGPRBlocks: 4
; VGPRBlocks: 44
; NumSGPRsForWavesPerEU: 38
; NumVGPRsForWavesPerEU: 177
; Occupancy: 1
; WaveLimiterHint : 1
; COMPUTE_PGM_RSRC2:SCRATCH_EN: 0
; COMPUTE_PGM_RSRC2:USER_SGPR: 6
; COMPUTE_PGM_RSRC2:TRAP_HANDLER: 0
; COMPUTE_PGM_RSRC2:TGID_X_EN: 1
; COMPUTE_PGM_RSRC2:TGID_Y_EN: 0
; COMPUTE_PGM_RSRC2:TGID_Z_EN: 0
; COMPUTE_PGM_RSRC2:TIDIG_COMP_CNT: 0
	.type	__hip_cuid_7ba32cb3305b6083,@object ; @__hip_cuid_7ba32cb3305b6083
	.section	.bss,"aw",@nobits
	.globl	__hip_cuid_7ba32cb3305b6083
__hip_cuid_7ba32cb3305b6083:
	.byte	0                               ; 0x0
	.size	__hip_cuid_7ba32cb3305b6083, 1

	.ident	"AMD clang version 19.0.0git (https://github.com/RadeonOpenCompute/llvm-project roc-6.4.0 25133 c7fe45cf4b819c5991fe208aaa96edf142730f1d)"
	.section	".note.GNU-stack","",@progbits
	.addrsig
	.addrsig_sym __hip_cuid_7ba32cb3305b6083
	.amdgpu_metadata
---
amdhsa.kernels:
  - .args:
      - .actual_access:  read_only
        .address_space:  global
        .offset:         0
        .size:           8
        .value_kind:     global_buffer
      - .actual_access:  read_only
        .address_space:  global
        .offset:         8
        .size:           8
        .value_kind:     global_buffer
      - .actual_access:  read_only
        .address_space:  global
        .offset:         16
        .size:           8
        .value_kind:     global_buffer
      - .actual_access:  read_only
        .address_space:  global
        .offset:         24
        .size:           8
        .value_kind:     global_buffer
      - .actual_access:  read_only
        .address_space:  global
        .offset:         32
        .size:           8
        .value_kind:     global_buffer
      - .offset:         40
        .size:           8
        .value_kind:     by_value
      - .address_space:  global
        .offset:         48
        .size:           8
        .value_kind:     global_buffer
      - .address_space:  global
        .offset:         56
        .size:           8
        .value_kind:     global_buffer
      - .address_space:  global
        .offset:         64
        .size:           8
        .value_kind:     global_buffer
      - .address_space:  global
        .offset:         72
        .size:           8
        .value_kind:     global_buffer
      - .offset:         80
        .size:           4
        .value_kind:     by_value
      - .address_space:  global
        .offset:         88
        .size:           8
        .value_kind:     global_buffer
      - .address_space:  global
        .offset:         96
        .size:           8
        .value_kind:     global_buffer
    .group_segment_fixed_size: 27440
    .kernarg_segment_align: 8
    .kernarg_segment_size: 104
    .language:       OpenCL C
    .language_version:
      - 2
      - 0
    .max_flat_workgroup_size: 245
    .name:           bluestein_single_fwd_len1715_dim1_dp_op_CI_CI
    .private_segment_fixed_size: 0
    .sgpr_count:     38
    .sgpr_spill_count: 0
    .symbol:         bluestein_single_fwd_len1715_dim1_dp_op_CI_CI.kd
    .uniform_work_group_size: 1
    .uses_dynamic_stack: false
    .vgpr_count:     177
    .vgpr_spill_count: 0
    .wavefront_size: 64
amdhsa.target:   amdgcn-amd-amdhsa--gfx906
amdhsa.version:
  - 1
  - 2
...

	.end_amdgpu_metadata
